;; amdgpu-corpus repo=ROCm/rocFFT kind=compiled arch=gfx1030 opt=O3
	.text
	.amdgcn_target "amdgcn-amd-amdhsa--gfx1030"
	.amdhsa_code_object_version 6
	.protected	fft_rtc_back_len200_factors_5_8_5_wgs_400_tpt_40_dp_op_CI_CI_sbcc_twdbase6_3step ; -- Begin function fft_rtc_back_len200_factors_5_8_5_wgs_400_tpt_40_dp_op_CI_CI_sbcc_twdbase6_3step
	.globl	fft_rtc_back_len200_factors_5_8_5_wgs_400_tpt_40_dp_op_CI_CI_sbcc_twdbase6_3step
	.p2align	8
	.type	fft_rtc_back_len200_factors_5_8_5_wgs_400_tpt_40_dp_op_CI_CI_sbcc_twdbase6_3step,@function
fft_rtc_back_len200_factors_5_8_5_wgs_400_tpt_40_dp_op_CI_CI_sbcc_twdbase6_3step: ; @fft_rtc_back_len200_factors_5_8_5_wgs_400_tpt_40_dp_op_CI_CI_sbcc_twdbase6_3step
; %bb.0:
	s_clause 0x1
	s_load_dwordx8 s[8:15], s[4:5], 0x8
	s_load_dwordx2 s[26:27], s[4:5], 0x28
	s_mov_b32 s0, exec_lo
	v_cmpx_gt_u32_e32 0xc0, v0
	s_cbranch_execz .LBB0_2
; %bb.1:
	v_lshlrev_b32_e32 v5, 4, v0
	s_waitcnt lgkmcnt(0)
	global_load_dwordx4 v[1:4], v5, s[8:9]
	v_add3_u32 v5, 0, v5, 0x7d00
	s_waitcnt vmcnt(0)
	ds_write2_b64 v5, v[1:2], v[3:4] offset1:1
.LBB0_2:
	s_or_b32 exec_lo, exec_lo, s0
	s_waitcnt lgkmcnt(0)
	s_load_dwordx2 s[28:29], s[12:13], 0x8
	s_waitcnt lgkmcnt(0)
	s_add_u32 s0, s28, -1
	s_addc_u32 s1, s29, -1
	s_add_u32 s2, 0, 0x99986000
	s_addc_u32 s3, 0, 0x59
	s_mul_hi_u32 s8, s2, -10
	s_add_i32 s3, s3, 0x19999940
	s_sub_i32 s8, s8, s2
	s_mul_i32 s16, s3, -10
	s_mul_i32 s7, s2, -10
	s_add_i32 s8, s8, s16
	s_mul_hi_u32 s9, s2, s7
	s_mul_i32 s18, s2, s8
	s_mul_hi_u32 s16, s2, s8
	s_mul_hi_u32 s17, s3, s7
	s_mul_i32 s7, s3, s7
	s_add_u32 s9, s9, s18
	s_addc_u32 s16, 0, s16
	s_mul_hi_u32 s19, s3, s8
	s_add_u32 s7, s9, s7
	s_mul_i32 s8, s3, s8
	s_addc_u32 s7, s16, s17
	s_addc_u32 s9, s19, 0
	s_add_u32 s7, s7, s8
	v_add_co_u32 v1, s2, s2, s7
	s_addc_u32 s7, 0, s9
	s_cmp_lg_u32 s2, 0
	s_addc_u32 s2, s3, s7
	v_readfirstlane_b32 s3, v1
	s_mul_i32 s8, s0, s2
	s_mul_hi_u32 s7, s0, s2
	s_mul_hi_u32 s9, s1, s2
	s_mul_i32 s2, s1, s2
	s_mul_hi_u32 s16, s0, s3
	s_mul_hi_u32 s17, s1, s3
	s_mul_i32 s3, s1, s3
	s_add_u32 s8, s16, s8
	s_addc_u32 s7, 0, s7
	s_add_u32 s3, s8, s3
	s_addc_u32 s3, s7, s17
	s_addc_u32 s7, s9, 0
	s_add_u32 s2, s3, s2
	s_addc_u32 s3, 0, s7
	s_mul_i32 s8, s2, 10
	s_add_u32 s7, s2, 1
	v_sub_co_u32 v1, s0, s0, s8
	s_mul_hi_u32 s8, s2, 10
	s_addc_u32 s9, s3, 0
	s_mul_i32 s16, s3, 10
	v_sub_co_u32 v2, s17, v1, 10
	s_add_u32 s18, s2, 2
	s_addc_u32 s19, s3, 0
	s_add_i32 s8, s8, s16
	s_cmp_lg_u32 s0, 0
	v_readfirstlane_b32 s0, v2
	s_subb_u32 s1, s1, s8
	s_cmp_lg_u32 s17, 0
	s_subb_u32 s8, s1, 0
	s_cmp_gt_u32 s0, 9
	s_cselect_b32 s0, -1, 0
	s_cmp_eq_u32 s8, 0
	v_readfirstlane_b32 s8, v1
	s_cselect_b32 s0, s0, -1
	s_cmp_lg_u32 s0, 0
	s_cselect_b32 s0, s18, s7
	s_cselect_b32 s9, s19, s9
	s_cmp_gt_u32 s8, 9
	s_cselect_b32 s7, -1, 0
	s_cmp_eq_u32 s1, 0
	s_cselect_b32 s1, s7, -1
	s_mov_b32 s7, 0
	s_cmp_lg_u32 s1, 0
	s_cselect_b32 s0, s0, s2
	s_cselect_b32 s1, s9, s3
	s_add_u32 s34, s0, 1
	s_addc_u32 s35, s1, 0
	s_mov_b64 s[8:9], 0
	v_cmp_lt_u64_e64 s0, s[6:7], s[34:35]
	s_and_b32 vcc_lo, exec_lo, s0
	s_cbranch_vccnz .LBB0_4
; %bb.3:
	v_cvt_f32_u32_e32 v1, s34
	s_sub_i32 s1, 0, s34
	s_mov_b32 s9, s7
	v_rcp_iflag_f32_e32 v1, v1
	v_mul_f32_e32 v1, 0x4f7ffffe, v1
	v_cvt_u32_f32_e32 v1, v1
	v_readfirstlane_b32 s0, v1
	s_mul_i32 s1, s1, s0
	s_mul_hi_u32 s1, s0, s1
	s_add_i32 s0, s0, s1
	s_mul_hi_u32 s0, s6, s0
	s_mul_i32 s1, s0, s34
	s_add_i32 s2, s0, 1
	s_sub_i32 s1, s6, s1
	s_sub_i32 s3, s1, s34
	s_cmp_ge_u32 s1, s34
	s_cselect_b32 s0, s2, s0
	s_cselect_b32 s1, s3, s1
	s_add_i32 s2, s0, 1
	s_cmp_ge_u32 s1, s34
	s_cselect_b32 s8, s2, s0
.LBB0_4:
	s_load_dwordx4 s[20:23], s[14:15], 0x0
	s_load_dwordx4 s[0:3], s[26:27], 0x0
	s_clause 0x1
	s_load_dwordx4 s[16:19], s[4:5], 0x60
	s_load_dwordx2 s[24:25], s[4:5], 0x0
	s_mul_i32 s4, s8, s35
	s_mul_hi_u32 s5, s8, s34
	s_mul_i32 s30, s8, s34
	s_add_i32 s5, s5, s4
	s_sub_u32 s48, s6, s30
	s_subb_u32 s4, 0, s5
	s_mul_hi_u32 s33, s48, 10
	s_mul_i32 s4, s4, 10
	v_cmp_lt_u64_e64 s36, s[10:11], 3
	s_add_i32 s33, s33, s4
	s_mul_i32 s48, s48, 10
	s_and_b32 vcc_lo, exec_lo, s36
	s_waitcnt lgkmcnt(0)
	s_mul_i32 s4, s22, s33
	s_mul_hi_u32 s5, s22, s48
	s_mul_i32 s37, s2, s33
	s_mul_hi_u32 s38, s2, s48
	s_mul_i32 s31, s23, s48
	s_mul_i32 s39, s3, s48
	s_add_i32 s4, s5, s4
	s_add_i32 s5, s38, s37
	s_mul_i32 s30, s22, s48
	s_add_i32 s31, s4, s31
	s_add_i32 s5, s5, s39
	s_mul_i32 s4, s2, s48
	s_cbranch_vccnz .LBB0_14
; %bb.5:
	s_add_u32 s36, s26, 16
	s_addc_u32 s37, s27, 0
	s_add_u32 s38, s14, 16
	s_addc_u32 s39, s15, 0
	;; [unrolled: 2-line block ×3, first 2 shown]
	s_mov_b64 s[40:41], 2
	s_mov_b32 s42, 0
.LBB0_6:                                ; =>This Inner Loop Header: Depth=1
	s_load_dwordx2 s[44:45], s[12:13], 0x0
	s_waitcnt lgkmcnt(0)
	s_or_b64 s[46:47], s[8:9], s[44:45]
	s_mov_b32 s43, s47
                                        ; implicit-def: $sgpr46_sgpr47
	s_cmp_lg_u64 s[42:43], 0
	s_mov_b32 s43, -1
	s_cbranch_scc0 .LBB0_8
; %bb.7:                                ;   in Loop: Header=BB0_6 Depth=1
	v_cvt_f32_u32_e32 v1, s44
	v_cvt_f32_u32_e32 v2, s45
	s_sub_u32 s47, 0, s44
	s_subb_u32 s49, 0, s45
	v_fmac_f32_e32 v1, 0x4f800000, v2
	v_rcp_f32_e32 v1, v1
	v_mul_f32_e32 v1, 0x5f7ffffc, v1
	v_mul_f32_e32 v2, 0x2f800000, v1
	v_trunc_f32_e32 v2, v2
	v_fmac_f32_e32 v1, 0xcf800000, v2
	v_cvt_u32_f32_e32 v2, v2
	v_cvt_u32_f32_e32 v1, v1
	v_readfirstlane_b32 s43, v2
	v_readfirstlane_b32 s46, v1
	s_mul_i32 s50, s47, s43
	s_mul_hi_u32 s52, s47, s46
	s_mul_i32 s51, s49, s46
	s_add_i32 s50, s52, s50
	s_mul_i32 s53, s47, s46
	s_add_i32 s50, s50, s51
	s_mul_hi_u32 s52, s46, s53
	s_mul_hi_u32 s54, s43, s53
	s_mul_i32 s51, s43, s53
	s_mul_hi_u32 s53, s46, s50
	s_mul_i32 s46, s46, s50
	s_mul_hi_u32 s55, s43, s50
	s_add_u32 s46, s52, s46
	s_addc_u32 s52, 0, s53
	s_add_u32 s46, s46, s51
	s_mul_i32 s50, s43, s50
	s_addc_u32 s46, s52, s54
	s_addc_u32 s51, s55, 0
	s_add_u32 s46, s46, s50
	s_addc_u32 s50, 0, s51
	v_add_co_u32 v1, s46, v1, s46
	s_cmp_lg_u32 s46, 0
	s_addc_u32 s43, s43, s50
	v_readfirstlane_b32 s46, v1
	s_mul_i32 s50, s47, s43
	s_mul_hi_u32 s51, s47, s46
	s_mul_i32 s49, s49, s46
	s_add_i32 s50, s51, s50
	s_mul_i32 s47, s47, s46
	s_add_i32 s50, s50, s49
	s_mul_hi_u32 s51, s43, s47
	s_mul_i32 s52, s43, s47
	s_mul_hi_u32 s47, s46, s47
	s_mul_hi_u32 s53, s46, s50
	s_mul_i32 s46, s46, s50
	s_mul_hi_u32 s49, s43, s50
	s_add_u32 s46, s47, s46
	s_addc_u32 s47, 0, s53
	s_add_u32 s46, s46, s52
	s_mul_i32 s50, s43, s50
	s_addc_u32 s46, s47, s51
	s_addc_u32 s47, s49, 0
	s_add_u32 s46, s46, s50
	s_addc_u32 s47, 0, s47
	v_add_co_u32 v1, s46, v1, s46
	s_cmp_lg_u32 s46, 0
	s_addc_u32 s43, s43, s47
	v_readfirstlane_b32 s46, v1
	s_mul_i32 s49, s8, s43
	s_mul_hi_u32 s47, s8, s43
	s_mul_hi_u32 s50, s9, s43
	s_mul_i32 s43, s9, s43
	s_mul_hi_u32 s51, s8, s46
	s_mul_hi_u32 s52, s9, s46
	s_mul_i32 s46, s9, s46
	s_add_u32 s49, s51, s49
	s_addc_u32 s47, 0, s47
	s_add_u32 s46, s49, s46
	s_addc_u32 s46, s47, s52
	s_addc_u32 s47, s50, 0
	s_add_u32 s46, s46, s43
	s_addc_u32 s47, 0, s47
	s_mul_hi_u32 s43, s44, s46
	s_mul_i32 s50, s44, s47
	s_mul_i32 s51, s44, s46
	s_add_i32 s43, s43, s50
	v_sub_co_u32 v1, s50, s8, s51
	s_mul_i32 s49, s45, s46
	s_add_i32 s43, s43, s49
	v_sub_co_u32 v2, s51, v1, s44
	s_sub_i32 s49, s9, s43
	s_cmp_lg_u32 s50, 0
	s_subb_u32 s49, s49, s45
	s_cmp_lg_u32 s51, 0
	v_readfirstlane_b32 s51, v2
	s_subb_u32 s49, s49, 0
	s_cmp_ge_u32 s49, s45
	s_cselect_b32 s52, -1, 0
	s_cmp_ge_u32 s51, s44
	s_cselect_b32 s51, -1, 0
	s_cmp_eq_u32 s49, s45
	s_cselect_b32 s49, s51, s52
	s_add_u32 s51, s46, 1
	s_addc_u32 s52, s47, 0
	s_add_u32 s53, s46, 2
	s_addc_u32 s54, s47, 0
	s_cmp_lg_u32 s49, 0
	s_cselect_b32 s49, s53, s51
	s_cselect_b32 s51, s54, s52
	s_cmp_lg_u32 s50, 0
	v_readfirstlane_b32 s50, v1
	s_subb_u32 s43, s9, s43
	s_cmp_ge_u32 s43, s45
	s_cselect_b32 s52, -1, 0
	s_cmp_ge_u32 s50, s44
	s_cselect_b32 s50, -1, 0
	s_cmp_eq_u32 s43, s45
	s_cselect_b32 s43, s50, s52
	s_cmp_lg_u32 s43, 0
	s_mov_b32 s43, 0
	s_cselect_b32 s47, s51, s47
	s_cselect_b32 s46, s49, s46
.LBB0_8:                                ;   in Loop: Header=BB0_6 Depth=1
	s_andn2_b32 vcc_lo, exec_lo, s43
	s_cbranch_vccnz .LBB0_10
; %bb.9:                                ;   in Loop: Header=BB0_6 Depth=1
	v_cvt_f32_u32_e32 v1, s44
	s_sub_i32 s46, 0, s44
	v_rcp_iflag_f32_e32 v1, v1
	v_mul_f32_e32 v1, 0x4f7ffffe, v1
	v_cvt_u32_f32_e32 v1, v1
	v_readfirstlane_b32 s43, v1
	s_mul_i32 s46, s46, s43
	s_mul_hi_u32 s46, s43, s46
	s_add_i32 s43, s43, s46
	s_mul_hi_u32 s43, s8, s43
	s_mul_i32 s46, s43, s44
	s_add_i32 s47, s43, 1
	s_sub_i32 s46, s8, s46
	s_sub_i32 s49, s46, s44
	s_cmp_ge_u32 s46, s44
	s_cselect_b32 s43, s47, s43
	s_cselect_b32 s46, s49, s46
	s_add_i32 s47, s43, 1
	s_cmp_ge_u32 s46, s44
	s_cselect_b32 s46, s47, s43
	s_mov_b32 s47, s42
.LBB0_10:                               ;   in Loop: Header=BB0_6 Depth=1
	s_load_dwordx2 s[50:51], s[38:39], 0x0
	s_load_dwordx2 s[52:53], s[36:37], 0x0
	s_mul_i32 s35, s44, s35
	s_mul_hi_u32 s43, s44, s34
	s_mul_i32 s49, s45, s34
	s_mul_i32 s45, s46, s45
	s_mul_hi_u32 s54, s46, s44
	s_mul_i32 s55, s47, s44
	s_add_i32 s35, s43, s35
	s_add_i32 s43, s54, s45
	s_mul_i32 s56, s46, s44
	s_add_i32 s35, s35, s49
	s_add_i32 s43, s43, s55
	s_sub_u32 s8, s8, s56
	s_subb_u32 s9, s9, s43
	s_mul_i32 s34, s44, s34
	s_waitcnt lgkmcnt(0)
	s_mul_i32 s43, s50, s9
	s_mul_hi_u32 s45, s50, s8
	s_mul_i32 s49, s51, s8
	s_add_i32 s43, s45, s43
	s_mul_i32 s50, s50, s8
	s_mul_i32 s9, s52, s9
	s_mul_hi_u32 s45, s52, s8
	s_add_i32 s43, s43, s49
	s_add_u32 s30, s50, s30
	s_addc_u32 s31, s43, s31
	s_add_i32 s9, s45, s9
	s_mul_i32 s43, s53, s8
	s_mul_i32 s8, s52, s8
	s_add_i32 s9, s9, s43
	s_add_u32 s4, s8, s4
	s_addc_u32 s5, s9, s5
	s_add_u32 s40, s40, 1
	s_addc_u32 s41, s41, 0
	s_add_u32 s36, s36, 8
	v_cmp_ge_u64_e64 s8, s[40:41], s[10:11]
	s_addc_u32 s37, s37, 0
	s_add_u32 s38, s38, 8
	s_addc_u32 s39, s39, 0
	s_add_u32 s12, s12, 8
	s_addc_u32 s13, s13, 0
	s_and_b32 vcc_lo, exec_lo, s8
	s_cbranch_vccnz .LBB0_12
; %bb.11:                               ;   in Loop: Header=BB0_6 Depth=1
	s_mov_b64 s[8:9], s[46:47]
	s_branch .LBB0_6
.LBB0_12:
	v_cmp_lt_u64_e64 s7, s[6:7], s[34:35]
	s_mov_b64 s[8:9], 0
	s_and_b32 vcc_lo, exec_lo, s7
	s_cbranch_vccnz .LBB0_14
; %bb.13:
	v_cvt_f32_u32_e32 v1, s34
	s_sub_i32 s8, 0, s34
	v_rcp_iflag_f32_e32 v1, v1
	v_mul_f32_e32 v1, 0x4f7ffffe, v1
	v_cvt_u32_f32_e32 v1, v1
	v_readfirstlane_b32 s7, v1
	s_mul_i32 s8, s8, s7
	s_mul_hi_u32 s8, s7, s8
	s_add_i32 s7, s7, s8
	s_mul_hi_u32 s7, s6, s7
	s_mul_i32 s8, s7, s34
	s_sub_i32 s6, s6, s8
	s_add_i32 s8, s7, 1
	s_sub_i32 s9, s6, s34
	s_cmp_ge_u32 s6, s34
	s_cselect_b32 s7, s8, s7
	s_cselect_b32 s6, s9, s6
	s_add_i32 s8, s7, 1
	s_cmp_ge_u32 s6, s34
	s_cselect_b32 s8, s8, s7
.LBB0_14:
	v_mul_hi_u32 v36, 0x1999999a, v0
	s_lshl_b64 s[10:11], s[10:11], 3
	s_add_u32 s6, s26, s10
	s_addc_u32 s7, s27, s11
	s_add_u32 s12, s48, 10
	s_addc_u32 s13, s33, 0
	v_mul_u32_u24_e32 v1, 10, v36
	v_lshlrev_b32_e32 v38, 4, v36
	v_add_nc_u32_e32 v35, 40, v36
	v_add_nc_u32_e32 v34, 0x50, v36
	;; [unrolled: 1-line block ×3, first 2 shown]
	v_sub_nc_u32_e32 v37, v0, v1
	v_add_nc_u32_e32 v32, 0xa0, v36
	v_add_co_u32 v1, s9, s48, v37
	v_add_co_ci_u32_e64 v2, null, s33, 0, s9
	v_cmp_le_u64_e64 s9, s[12:13], s[28:29]
	v_mul_lo_u32 v39, 0xc80, v37
	v_cmp_gt_u64_e32 vcc_lo, s[28:29], v[1:2]
	s_or_b32 s9, s9, vcc_lo
	s_and_saveexec_b32 s12, s9
	s_cbranch_execz .LBB0_16
; %bb.15:
	s_add_u32 s10, s14, s10
	s_addc_u32 s11, s15, s11
	v_mad_u64_u32 v[1:2], null, s22, v37, 0
	s_load_dwordx2 s[10:11], s[10:11], 0x0
	v_mad_u64_u32 v[3:4], null, s20, v36, 0
	v_mad_u64_u32 v[5:6], null, s20, v35, 0
	;; [unrolled: 1-line block ×3, first 2 shown]
	v_add3_u32 v21, 0, v39, v38
	v_mad_u64_u32 v[9:10], null, s23, v37, v[2:3]
	v_mad_u64_u32 v[10:11], null, s21, v36, v[4:5]
	v_mad_u64_u32 v[11:12], null, s21, v35, v[6:7]
	v_mov_b32_e32 v2, v9
	v_mov_b32_e32 v4, v10
	s_waitcnt lgkmcnt(0)
	s_mul_i32 s11, s11, s8
	s_mul_hi_u32 s13, s10, s8
	s_mul_i32 s10, s10, s8
	s_add_i32 s11, s13, s11
	v_mad_u64_u32 v[9:10], null, s20, v33, 0
	s_lshl_b64 s[10:11], s[10:11], 4
	v_lshlrev_b64 v[1:2], 4, v[1:2]
	s_add_u32 s13, s16, s10
	s_addc_u32 s14, s17, s11
	s_lshl_b64 s[10:11], s[30:31], 4
	v_mov_b32_e32 v6, v11
	s_add_u32 s10, s13, s10
	v_mad_u64_u32 v[12:13], null, s21, v34, v[8:9]
	s_addc_u32 s11, s14, s11
	v_mad_u64_u32 v[13:14], null, s20, v32, 0
	v_add_co_u32 v17, vcc_lo, s10, v1
	v_add_co_ci_u32_e32 v18, vcc_lo, s11, v2, vcc_lo
	v_lshlrev_b64 v[2:3], 4, v[3:4]
	v_mov_b32_e32 v1, v10
	v_mov_b32_e32 v8, v12
	v_lshlrev_b64 v[4:5], 4, v[5:6]
	v_mad_u64_u32 v[10:11], null, s21, v33, v[1:2]
	v_mov_b32_e32 v1, v14
	v_add_co_u32 v2, vcc_lo, v17, v2
	v_lshlrev_b64 v[6:7], 4, v[7:8]
	v_add_co_ci_u32_e32 v3, vcc_lo, v18, v3, vcc_lo
	v_mad_u64_u32 v[11:12], null, s21, v32, v[1:2]
	v_add_co_u32 v15, vcc_lo, v17, v4
	v_add_co_ci_u32_e32 v16, vcc_lo, v18, v5, vcc_lo
	v_lshlrev_b64 v[4:5], 4, v[9:10]
	v_add_co_u32 v9, vcc_lo, v17, v6
	v_mov_b32_e32 v14, v11
	v_add_co_ci_u32_e32 v10, vcc_lo, v18, v7, vcc_lo
	v_lshlrev_b64 v[6:7], 4, v[13:14]
	v_add_co_u32 v13, vcc_lo, v17, v4
	v_add_co_ci_u32_e32 v14, vcc_lo, v18, v5, vcc_lo
	v_add_co_u32 v17, vcc_lo, v17, v6
	v_add_co_ci_u32_e32 v18, vcc_lo, v18, v7, vcc_lo
	s_clause 0x4
	global_load_dwordx4 v[1:4], v[2:3], off
	global_load_dwordx4 v[5:8], v[15:16], off
	;; [unrolled: 1-line block ×5, first 2 shown]
	s_waitcnt vmcnt(4)
	ds_write_b128 v21, v[1:4]
	s_waitcnt vmcnt(3)
	ds_write_b128 v21, v[5:8] offset:640
	s_waitcnt vmcnt(2)
	ds_write_b128 v21, v[9:12] offset:1280
	;; [unrolled: 2-line block ×4, first 2 shown]
.LBB0_16:
	s_or_b32 exec_lo, exec_lo, s12
	s_add_u32 s10, 0, 0x99986000
	s_addc_u32 s11, 0, 0x59
	s_mul_hi_u32 s13, s10, -10
	s_add_i32 s11, s11, 0x19999940
	s_sub_i32 s13, s13, s10
	s_mul_i32 s14, s11, -10
	s_mul_i32 s12, s10, -10
	s_add_i32 s13, s13, s14
	s_mul_hi_u32 s15, s11, s12
	s_mul_i32 s14, s11, s12
	s_mul_i32 s16, s10, s13
	s_mul_hi_u32 s12, s10, s12
	s_mul_hi_u32 s17, s10, s13
	s_add_u32 s12, s12, s16
	v_mul_hi_u32 v5, 0x6666667, v0
	s_addc_u32 s16, 0, s17
	s_mul_hi_u32 s17, s11, s13
	s_add_u32 s12, s12, s14
	s_addc_u32 s12, s16, s15
	s_mul_i32 s13, s11, s13
	s_addc_u32 s14, s17, 0
	s_add_u32 s12, s12, s13
	s_load_dwordx2 s[6:7], s[6:7], 0x0
	v_add_co_u32 v3, s10, s10, s12
	s_addc_u32 s12, 0, s14
	s_cmp_lg_u32 s10, 0
	v_add_co_u32 v42, s10, s48, v5
	v_add_co_ci_u32_e64 v6, null, s33, 0, s10
	s_addc_u32 s10, s11, s12
	v_mul_hi_u32 v7, v42, v3
	v_mad_u64_u32 v[1:2], null, v42, s10, 0
	v_mad_u64_u32 v[3:4], null, v6, v3, 0
	s_waitcnt lgkmcnt(0)
	s_barrier
	buffer_gl0_inv
	s_mov_b32 s13, 0x3fee6f0e
	v_add_co_u32 v7, vcc_lo, v7, v1
	v_add_co_ci_u32_e32 v8, vcc_lo, 0, v2, vcc_lo
	v_mad_u64_u32 v[1:2], null, v6, s10, 0
	v_add_co_u32 v3, vcc_lo, v7, v3
	v_add_co_ci_u32_e32 v3, vcc_lo, v8, v4, vcc_lo
	s_mov_b32 s10, 0x134454ff
	s_mov_b32 s11, 0xbfee6f0e
	v_add_co_ci_u32_e32 v2, vcc_lo, 0, v2, vcc_lo
	v_add_co_u32 v1, vcc_lo, v3, v1
	s_mov_b32 s12, s10
	v_add_co_ci_u32_e32 v3, vcc_lo, 0, v2, vcc_lo
	v_mad_u64_u32 v[1:2], null, v1, 10, 0
	v_mad_u64_u32 v[2:3], null, v3, 10, v[2:3]
	v_sub_co_u32 v1, vcc_lo, v42, v1
	v_sub_co_ci_u32_e32 v2, vcc_lo, v6, v2, vcc_lo
	v_sub_co_u32 v3, vcc_lo, v1, 10
	v_subrev_co_ci_u32_e32 v4, vcc_lo, 0, v2, vcc_lo
	v_cmp_lt_u32_e32 vcc_lo, 9, v3
	v_cndmask_b32_e64 v6, 0, -1, vcc_lo
	v_cmp_lt_u32_e32 vcc_lo, 9, v1
	v_cndmask_b32_e64 v7, 0, -1, vcc_lo
	v_cmp_eq_u32_e32 vcc_lo, 0, v4
	v_cndmask_b32_e32 v4, -1, v6, vcc_lo
	v_cmp_eq_u32_e32 vcc_lo, 0, v2
	v_add_nc_u32_e32 v6, -10, v3
	v_cndmask_b32_e32 v2, -1, v7, vcc_lo
	v_cmp_ne_u32_e32 vcc_lo, 0, v4
	v_mul_u32_u24_e32 v4, 40, v5
	v_cndmask_b32_e32 v3, v3, v6, vcc_lo
	v_cmp_ne_u32_e32 vcc_lo, 0, v2
	v_sub_nc_u32_e32 v43, v0, v4
	v_cndmask_b32_e32 v1, v1, v3, vcc_lo
	v_lshlrev_b32_e32 v16, 4, v43
	v_cmp_gt_u32_e32 vcc_lo, 25, v43
	v_mul_u32_u24_e32 v0, 0xc8, v1
	v_lshlrev_b32_e32 v44, 4, v0
	v_add3_u32 v40, 0, v16, v44
	ds_read_b128 v[0:3], v40 offset:1280
	ds_read_b128 v[4:7], v40 offset:1920
	;; [unrolled: 1-line block ×4, first 2 shown]
	v_add3_u32 v41, 0, v44, v16
	ds_read_b128 v[16:19], v41
	s_waitcnt lgkmcnt(0)
	s_barrier
	buffer_gl0_inv
	v_add_f64 v[20:21], v[0:1], v[4:5]
	v_add_f64 v[24:25], v[2:3], v[6:7]
	;; [unrolled: 1-line block ×4, first 2 shown]
	v_add_f64 v[30:31], v[14:15], -v[10:11]
	v_add_f64 v[45:46], v[2:3], -v[6:7]
	;; [unrolled: 1-line block ×4, first 2 shown]
	v_add_f64 v[28:29], v[16:17], v[12:13]
	v_add_f64 v[47:48], v[18:19], v[14:15]
	v_add_f64 v[53:54], v[4:5], -v[8:9]
	v_add_f64 v[55:56], v[14:15], -v[2:3]
	;; [unrolled: 1-line block ×5, first 2 shown]
	v_fma_f64 v[20:21], v[20:21], -0.5, v[16:17]
	v_fma_f64 v[24:25], v[24:25], -0.5, v[18:19]
	;; [unrolled: 1-line block ×3, first 2 shown]
	v_add_f64 v[22:23], v[0:1], -v[4:5]
	v_fma_f64 v[18:19], v[26:27], -0.5, v[18:19]
	v_add_f64 v[26:27], v[12:13], -v[0:1]
	v_add_f64 v[12:13], v[0:1], -v[12:13]
	v_add_f64 v[0:1], v[28:29], v[0:1]
	v_add_f64 v[2:3], v[47:48], v[2:3]
	;; [unrolled: 1-line block ×3, first 2 shown]
	v_fma_f64 v[28:29], v[30:31], s[10:11], v[20:21]
	v_fma_f64 v[20:21], v[30:31], s[12:13], v[20:21]
	;; [unrolled: 1-line block ×8, first 2 shown]
	s_mov_b32 s10, 0x4755a5e
	s_mov_b32 s11, 0xbfe2cf23
	;; [unrolled: 1-line block ×4, first 2 shown]
	v_add_f64 v[26:27], v[26:27], v[51:52]
	v_add_f64 v[12:13], v[12:13], v[53:54]
	;; [unrolled: 1-line block ×5, first 2 shown]
	v_fma_f64 v[4:5], v[45:46], s[10:11], v[28:29]
	v_fma_f64 v[6:7], v[45:46], s[12:13], v[20:21]
	;; [unrolled: 1-line block ×8, first 2 shown]
	s_mov_b32 s10, 0x372fe950
	s_mov_b32 s11, 0x3fd3c6ef
	v_add_f64 v[0:1], v[0:1], v[8:9]
	v_add_f64 v[2:3], v[2:3], v[10:11]
	v_fma_f64 v[4:5], v[26:27], s[10:11], v[4:5]
	v_fma_f64 v[16:17], v[26:27], s[10:11], v[6:7]
	;; [unrolled: 1-line block ×8, first 2 shown]
	v_lshl_add_u32 v20, v43, 6, v40
	ds_write_b128 v20, v[0:3]
	ds_write_b128 v20, v[4:7] offset:16
	ds_write_b128 v20, v[8:11] offset:32
	;; [unrolled: 1-line block ×4, first 2 shown]
	s_waitcnt lgkmcnt(0)
	s_barrier
	buffer_gl0_inv
                                        ; implicit-def: $vgpr26_vgpr27
                                        ; implicit-def: $vgpr30_vgpr31
                                        ; implicit-def: $vgpr22_vgpr23
	s_and_saveexec_b32 s10, vcc_lo
	s_cbranch_execz .LBB0_18
; %bb.17:
	ds_read_b128 v[0:3], v41
	ds_read_b128 v[4:7], v40 offset:400
	ds_read_b128 v[8:11], v40 offset:800
	;; [unrolled: 1-line block ×7, first 2 shown]
.LBB0_18:
	s_or_b32 exec_lo, exec_lo, s10
	s_waitcnt lgkmcnt(0)
	s_barrier
	buffer_gl0_inv
	s_and_saveexec_b32 s10, vcc_lo
	s_cbranch_execz .LBB0_20
; %bb.19:
	v_and_b32_e32 v45, 0xff, v43
	v_mov_b32_e32 v46, 7
	s_mov_b32 s12, 0x667f3bcd
	s_mov_b32 s13, 0x3fe6a09e
	;; [unrolled: 1-line block ×3, first 2 shown]
	v_mul_lo_u16 v45, 0xcd, v45
	s_mov_b32 s14, s12
	v_lshrrev_b16 v87, 10, v45
	v_mul_lo_u16 v45, v87, 5
	v_sub_nc_u16 v88, v43, v45
	v_mul_u32_u24_sdwa v45, v88, v46 dst_sel:DWORD dst_unused:UNUSED_PAD src0_sel:BYTE_0 src1_sel:DWORD
	v_lshlrev_b32_e32 v69, 4, v45
	s_clause 0x6
	global_load_dwordx4 v[45:48], v69, s[24:25]
	global_load_dwordx4 v[49:52], v69, s[24:25] offset:16
	global_load_dwordx4 v[53:56], v69, s[24:25] offset:48
	;; [unrolled: 1-line block ×6, first 2 shown]
	s_waitcnt vmcnt(6)
	v_mul_f64 v[73:74], v[4:5], v[47:48]
	v_mul_f64 v[47:48], v[6:7], v[47:48]
	s_waitcnt vmcnt(5)
	v_mul_f64 v[75:76], v[10:11], v[51:52]
	s_waitcnt vmcnt(4)
	v_mul_f64 v[77:78], v[16:17], v[55:56]
	s_waitcnt vmcnt(3)
	v_mul_f64 v[79:80], v[26:27], v[59:60]
	s_waitcnt vmcnt(2)
	v_mul_f64 v[81:82], v[20:21], v[63:64]
	s_waitcnt vmcnt(1)
	v_mul_f64 v[83:84], v[14:15], v[67:68]
	s_waitcnt vmcnt(0)
	v_mul_f64 v[85:86], v[30:31], v[71:72]
	v_mul_f64 v[51:52], v[8:9], v[51:52]
	;; [unrolled: 1-line block ×7, first 2 shown]
	v_fma_f64 v[6:7], v[6:7], v[45:46], -v[73:74]
	v_fma_f64 v[4:5], v[4:5], v[45:46], v[47:48]
	v_fma_f64 v[8:9], v[8:9], v[49:50], v[75:76]
	v_fma_f64 v[18:19], v[18:19], v[53:54], -v[77:78]
	v_fma_f64 v[24:25], v[24:25], v[57:58], v[79:80]
	v_fma_f64 v[22:23], v[22:23], v[61:62], -v[81:82]
	v_fma_f64 v[12:13], v[12:13], v[65:66], v[83:84]
	v_fma_f64 v[28:29], v[28:29], v[69:70], v[85:86]
	v_fma_f64 v[10:11], v[10:11], v[49:50], -v[51:52]
	v_fma_f64 v[26:27], v[26:27], v[57:58], -v[59:60]
	v_fma_f64 v[20:21], v[20:21], v[61:62], v[63:64]
	v_fma_f64 v[16:17], v[16:17], v[53:54], v[55:56]
	v_fma_f64 v[14:15], v[14:15], v[65:66], -v[67:68]
	v_fma_f64 v[30:31], v[30:31], v[69:70], -v[71:72]
	v_add_f64 v[18:19], v[2:3], -v[18:19]
	v_add_f64 v[24:25], v[8:9], -v[24:25]
	;; [unrolled: 1-line block ×8, first 2 shown]
	v_fma_f64 v[2:3], v[2:3], 2.0, -v[18:19]
	v_add_f64 v[45:46], v[18:19], -v[24:25]
	v_fma_f64 v[6:7], v[6:7], 2.0, -v[22:23]
	v_fma_f64 v[8:9], v[8:9], 2.0, -v[24:25]
	v_add_f64 v[47:48], v[22:23], -v[28:29]
	v_fma_f64 v[12:13], v[12:13], 2.0, -v[28:29]
	v_fma_f64 v[10:11], v[10:11], 2.0, -v[26:27]
	;; [unrolled: 1-line block ×4, first 2 shown]
	v_add_f64 v[26:27], v[16:17], v[26:27]
	v_fma_f64 v[14:15], v[14:15], 2.0, -v[30:31]
	v_add_f64 v[24:25], v[20:21], v[30:31]
	v_fma_f64 v[30:31], v[18:19], 2.0, -v[45:46]
	v_fma_f64 v[18:19], v[22:23], 2.0, -v[47:48]
	v_add_f64 v[28:29], v[2:3], -v[10:11]
	v_add_f64 v[10:11], v[4:5], -v[12:13]
	;; [unrolled: 1-line block ×3, first 2 shown]
	v_fma_f64 v[51:52], v[16:17], 2.0, -v[26:27]
	v_add_f64 v[12:13], v[6:7], -v[14:15]
	v_fma_f64 v[8:9], v[20:21], 2.0, -v[24:25]
	v_fma_f64 v[14:15], v[47:48], s[12:13], v[45:46]
	v_fma_f64 v[16:17], v[24:25], s[12:13], v[26:27]
	;; [unrolled: 1-line block ×3, first 2 shown]
	v_fma_f64 v[53:54], v[2:3], 2.0, -v[28:29]
	v_fma_f64 v[57:58], v[4:5], 2.0, -v[10:11]
	;; [unrolled: 1-line block ×4, first 2 shown]
	v_fma_f64 v[59:60], v[8:9], s[14:15], v[51:52]
	v_add_f64 v[6:7], v[28:29], -v[10:11]
	v_add_f64 v[4:5], v[49:50], v[12:13]
	v_fma_f64 v[2:3], v[24:25], s[14:15], v[14:15]
	v_fma_f64 v[0:1], v[47:48], s[12:13], v[16:17]
	v_mov_b32_e32 v16, 40
	v_mul_u32_u24_sdwa v47, v87, v16 dst_sel:DWORD dst_unused:UNUSED_PAD src0_sel:WORD_0 src1_sel:DWORD
	v_fma_f64 v[10:11], v[8:9], s[14:15], v[20:21]
	v_add_f64 v[12:13], v[55:56], -v[57:58]
	v_add_f64 v[14:15], v[53:54], -v[22:23]
	v_fma_f64 v[8:9], v[18:19], s[12:13], v[59:60]
	v_fma_f64 v[22:23], v[28:29], 2.0, -v[6:7]
	v_fma_f64 v[20:21], v[49:50], 2.0, -v[4:5]
	;; [unrolled: 1-line block ×4, first 2 shown]
	v_or_b32_sdwa v45, v47, v88 dst_sel:DWORD dst_unused:UNUSED_PAD src0_sel:DWORD src1_sel:BYTE_0
	v_lshlrev_b32_e32 v45, 4, v45
	v_add3_u32 v44, 0, v45, v44
	v_fma_f64 v[26:27], v[30:31], 2.0, -v[10:11]
	v_fma_f64 v[28:29], v[55:56], 2.0, -v[12:13]
	;; [unrolled: 1-line block ×4, first 2 shown]
	ds_write_b128 v44, v[4:7] offset:480
	ds_write_b128 v44, v[20:23] offset:160
	;; [unrolled: 1-line block ×5, first 2 shown]
	ds_write_b128 v44, v[28:31]
	ds_write_b128 v44, v[24:27] offset:80
	ds_write_b128 v44, v[0:3] offset:560
.LBB0_20:
	s_or_b32 exec_lo, exec_lo, s10
	v_lshlrev_b32_e32 v0, 2, v43
	v_mov_b32_e32 v1, 0
	s_waitcnt lgkmcnt(0)
	s_barrier
	buffer_gl0_inv
	v_mul_lo_u32 v28, v43, v42
	v_lshlrev_b64 v[0:1], 4, v[0:1]
	v_mul_lo_u32 v53, v42, 40
	s_add_i32 s10, 0, 0x7d00
	s_mov_b32 s12, 0x134454ff
	s_mov_b32 s13, 0xbfee6f0e
	s_mov_b32 s11, 0x3fee6f0e
	v_add_co_u32 v0, vcc_lo, s24, v0
	v_add_co_ci_u32_e32 v1, vcc_lo, s25, v1, vcc_lo
	v_and_b32_e32 v45, 63, v28
	v_lshrrev_b32_e32 v46, 2, v28
	s_clause 0x3
	global_load_dwordx4 v[12:15], v[0:1], off offset:576
	global_load_dwordx4 v[8:11], v[0:1], off offset:592
	;; [unrolled: 1-line block ×4, first 2 shown]
	ds_read_b128 v[16:19], v40 offset:1280
	ds_read_b128 v[20:23], v40 offset:1920
	;; [unrolled: 1-line block ×3, first 2 shown]
	v_lshrrev_b32_e32 v47, 8, v28
	v_add_nc_u32_e32 v48, v28, v53
	ds_read_b128 v[28:31], v40 offset:640
	ds_read_b128 v[41:44], v41
	v_and_b32_e32 v46, 0x3f0, v46
	v_lshl_add_u32 v45, v45, 4, 0
	v_and_b32_e32 v47, 0x3f0, v47
	v_lshrrev_b32_e32 v50, 2, v48
	v_and_b32_e32 v49, 63, v48
	v_add_nc_u32_e32 v51, v48, v53
	v_lshrrev_b32_e32 v48, 8, v48
	v_add_nc_u32_e32 v52, s10, v46
	v_and_b32_e32 v55, 0x3f0, v50
	v_lshl_add_u32 v54, v49, 4, 0
	v_and_b32_e32 v56, 63, v51
	v_lshrrev_b32_e32 v57, 2, v51
	v_add_nc_u32_e32 v58, v51, v53
	v_and_b32_e32 v60, 0x3f0, v48
	v_lshrrev_b32_e32 v61, 8, v51
	v_add_nc_u32_e32 v59, s10, v47
	v_add_nc_u32_e32 v62, s10, v55
	ds_read_b128 v[45:48], v45 offset:32000
	ds_read_b128 v[49:52], v52 offset:1024
	v_lshl_add_u32 v65, v56, 4, 0
	v_and_b32_e32 v66, 0x3f0, v57
	v_and_b32_e32 v67, 63, v58
	v_lshrrev_b32_e32 v68, 2, v58
	v_add_nc_u32_e32 v95, v58, v53
	v_add_nc_u32_e32 v93, s10, v60
	v_lshrrev_b32_e32 v69, 8, v58
	v_and_b32_e32 v70, 0x3f0, v61
	ds_read_b128 v[53:56], v54 offset:32000
	ds_read_b128 v[57:60], v59 offset:2048
	;; [unrolled: 1-line block ×3, first 2 shown]
	v_lshrrev_b32_e32 v94, 2, v95
	v_and_b32_e32 v96, 63, v95
	v_and_b32_e32 v97, 0x3f0, v69
	v_add_nc_u32_e32 v98, s10, v70
	s_waitcnt lgkmcnt(3)
	v_mul_f64 v[91:92], v[47:48], v[51:52]
	v_mul_f64 v[51:52], v[45:46], v[51:52]
	v_fma_f64 v[45:46], v[45:46], v[49:50], -v[91:92]
	v_fma_f64 v[47:48], v[47:48], v[49:50], v[51:52]
	v_lshrrev_b32_e32 v91, 8, v95
	v_and_b32_e32 v95, 0x3f0, v91
	s_waitcnt vmcnt(3)
	v_mul_f64 v[77:78], v[16:17], v[14:15]
	v_mul_f64 v[14:15], v[18:19], v[14:15]
	s_waitcnt vmcnt(2)
	v_mul_f64 v[79:80], v[20:21], v[10:11]
	v_mul_f64 v[81:82], v[22:23], v[10:11]
	s_waitcnt vmcnt(1)
	v_mul_f64 v[83:84], v[28:29], v[6:7]
	s_waitcnt vmcnt(0)
	v_mul_f64 v[85:86], v[24:25], v[2:3]
	v_mul_f64 v[87:88], v[30:31], v[6:7]
	;; [unrolled: 1-line block ×3, first 2 shown]
	v_add_nc_u32_e32 v10, s10, v66
	v_and_b32_e32 v66, 0x3f0, v68
	v_lshl_add_u32 v11, v67, 4, 0
	v_add_nc_u32_e32 v6, s10, v66
	ds_read_b128 v[65:68], v65 offset:32000
	ds_read_b128 v[69:72], v10 offset:1024
	;; [unrolled: 1-line block ×3, first 2 shown]
	v_fma_f64 v[77:78], v[18:19], v[12:13], -v[77:78]
	v_fma_f64 v[89:90], v[16:17], v[12:13], v[14:15]
	ds_read_b128 v[10:13], v6 offset:1024
	v_fma_f64 v[79:80], v[22:23], v[8:9], -v[79:80]
	v_fma_f64 v[81:82], v[20:21], v[8:9], v[81:82]
	ds_read_b128 v[6:9], v93 offset:2048
	v_and_b32_e32 v14, 0x3f0, v94
	s_waitcnt lgkmcnt(5)
	v_mul_f64 v[93:94], v[55:56], v[63:64]
	v_fma_f64 v[30:31], v[30:31], v[4:5], -v[83:84]
	v_fma_f64 v[26:27], v[26:27], v[0:1], -v[85:86]
	v_mul_f64 v[63:64], v[53:54], v[63:64]
	v_fma_f64 v[4:5], v[28:29], v[4:5], v[87:88]
	v_fma_f64 v[28:29], v[24:25], v[0:1], v[2:3]
	v_add_nc_u32_e32 v15, s10, v97
	v_lshl_add_u32 v18, v96, 4, 0
	v_add_nc_u32_e32 v22, s10, v14
	s_waitcnt lgkmcnt(3)
	v_mul_f64 v[83:84], v[67:68], v[71:72]
	v_mul_f64 v[71:72], v[65:66], v[71:72]
	ds_read_b128 v[0:3], v98 offset:2048
	ds_read_b128 v[14:17], v15 offset:2048
	;; [unrolled: 1-line block ×4, first 2 shown]
	s_waitcnt lgkmcnt(5)
	v_mul_f64 v[85:86], v[75:76], v[12:13]
	v_mul_f64 v[12:13], v[73:74], v[12:13]
	v_add_f64 v[87:88], v[89:90], v[81:82]
	v_fma_f64 v[49:50], v[53:54], v[61:62], -v[93:94]
	v_add_f64 v[53:54], v[77:78], v[79:80]
	v_add_f64 v[51:52], v[30:31], v[26:27]
	v_fma_f64 v[55:56], v[55:56], v[61:62], v[63:64]
	v_add_f64 v[93:94], v[30:31], -v[26:27]
	v_add_f64 v[61:62], v[4:5], v[28:29]
	v_add_f64 v[91:92], v[4:5], -v[28:29]
	v_add_f64 v[97:98], v[26:27], -v[79:80]
	s_waitcnt lgkmcnt(0)
	v_mul_f64 v[63:64], v[20:21], v[24:25]
	v_mul_f64 v[24:25], v[18:19], v[24:25]
	v_fma_f64 v[65:66], v[65:66], v[69:70], -v[83:84]
	v_fma_f64 v[67:68], v[67:68], v[69:70], v[71:72]
	v_add_f64 v[71:72], v[41:42], v[4:5]
	v_add_f64 v[83:84], v[89:90], -v[81:82]
	v_fma_f64 v[69:70], v[73:74], v[10:11], -v[85:86]
	v_fma_f64 v[73:74], v[75:76], v[10:11], v[12:13]
	v_add_f64 v[10:11], v[43:44], v[30:31]
	v_add_f64 v[75:76], v[4:5], -v[89:90]
	v_add_f64 v[85:86], v[28:29], -v[81:82]
	v_add_nc_u32_e32 v12, s10, v95
	s_mov_b32 s10, s12
	v_add_f64 v[4:5], v[89:90], -v[4:5]
	v_add_f64 v[95:96], v[30:31], -v[77:78]
	v_fma_f64 v[51:52], v[51:52], -0.5, v[43:44]
	v_fma_f64 v[43:44], v[53:54], -0.5, v[43:44]
	;; [unrolled: 1-line block ×3, first 2 shown]
	v_add_f64 v[87:88], v[77:78], -v[79:80]
	v_fma_f64 v[41:42], v[61:62], -0.5, v[41:42]
	v_add_f64 v[61:62], v[81:82], -v[28:29]
	v_add_f64 v[30:31], v[77:78], -v[30:31]
	v_fma_f64 v[18:19], v[18:19], v[22:23], -v[63:64]
	v_fma_f64 v[20:21], v[20:21], v[22:23], v[24:25]
	v_add_f64 v[71:72], v[71:72], v[89:90]
	v_add_f64 v[89:90], v[79:80], -v[26:27]
	v_add_f64 v[22:23], v[10:11], v[77:78]
	ds_read_b128 v[10:13], v12 offset:2048
	v_add_f64 v[24:25], v[75:76], v[85:86]
	s_waitcnt lgkmcnt(0)
	s_barrier
	buffer_gl0_inv
	v_add_f64 v[95:96], v[95:96], v[97:98]
	v_fma_f64 v[63:64], v[83:84], s[12:13], v[51:52]
	v_fma_f64 v[75:76], v[91:92], s[10:11], v[43:44]
	;; [unrolled: 1-line block ×8, first 2 shown]
	s_mov_b32 s10, 0x4755a5e
	s_mov_b32 s11, 0xbfe2cf23
	;; [unrolled: 1-line block ×4, first 2 shown]
	v_add_f64 v[4:5], v[4:5], v[61:62]
	v_mul_f64 v[61:62], v[45:46], v[59:60]
	v_add_f64 v[71:72], v[71:72], v[81:82]
	v_add_f64 v[22:23], v[22:23], v[79:80]
	v_mul_f64 v[97:98], v[49:50], v[8:9]
	v_add_f64 v[30:31], v[30:31], v[89:90]
	v_mul_f64 v[89:90], v[65:66], v[2:3]
	v_mul_f64 v[81:82], v[69:70], v[16:17]
	;; [unrolled: 1-line block ×4, first 2 shown]
	v_fma_f64 v[63:64], v[91:92], s[12:13], v[63:64]
	v_fma_f64 v[75:76], v[83:84], s[12:13], v[75:76]
	;; [unrolled: 1-line block ×8, first 2 shown]
	s_mov_b32 s10, 0x372fe950
	s_mov_b32 s11, 0x3fd3c6ef
	v_mul_f64 v[2:3], v[67:68], v[2:3]
	v_mul_f64 v[8:9], v[55:56], v[8:9]
	;; [unrolled: 1-line block ×3, first 2 shown]
	v_fma_f64 v[47:48], v[57:58], v[47:48], v[61:62]
	v_mul_f64 v[16:17], v[73:74], v[16:17]
	v_add_f64 v[22:23], v[22:23], v[26:27]
	v_add_f64 v[26:27], v[71:72], v[28:29]
	v_fma_f64 v[55:56], v[6:7], v[55:56], v[97:98]
	v_fma_f64 v[61:62], v[0:1], v[67:68], v[89:90]
	;; [unrolled: 1-line block ×12, first 2 shown]
	v_fma_f64 v[4:5], v[57:58], v[45:46], -v[59:60]
	v_fma_f64 v[45:46], v[0:1], v[65:66], -v[2:3]
	;; [unrolled: 1-line block ×5, first 2 shown]
	v_mul_f64 v[0:1], v[22:23], v[47:48]
	v_mul_f64 v[2:3], v[26:27], v[47:48]
	;; [unrolled: 1-line block ×10, first 2 shown]
	v_fma_f64 v[0:1], v[26:27], v[4:5], v[0:1]
	v_fma_f64 v[2:3], v[22:23], v[4:5], -v[2:3]
	v_fma_f64 v[4:5], v[71:72], v[6:7], v[8:9]
	v_fma_f64 v[6:7], v[28:29], v[6:7], -v[10:11]
	;; [unrolled: 2-line block ×5, first 2 shown]
	ds_write_b128 v40, v[0:3]
	ds_write_b128 v40, v[4:7] offset:640
	ds_write_b128 v40, v[8:11] offset:1280
	;; [unrolled: 1-line block ×4, first 2 shown]
	s_waitcnt lgkmcnt(0)
	s_barrier
	buffer_gl0_inv
	s_and_saveexec_b32 s10, s9
	s_cbranch_execz .LBB0_22
; %bb.21:
	v_mad_u64_u32 v[0:1], null, s2, v37, 0
	v_mad_u64_u32 v[2:3], null, s0, v36, 0
	s_mul_i32 s7, s7, s8
	s_mul_hi_u32 s9, s6, s8
	v_mad_u64_u32 v[8:9], null, s0, v35, 0
	s_mul_i32 s2, s6, s8
	v_mad_u64_u32 v[10:11], null, s0, v34, 0
	v_mad_u64_u32 v[4:5], null, s3, v37, v[1:2]
	s_add_i32 s3, s9, s7
	v_mad_u64_u32 v[20:21], null, s0, v33, 0
	s_lshl_b64 s[2:3], s[2:3], 4
	v_mad_u64_u32 v[24:25], null, s0, v32, 0
	v_mad_u64_u32 v[5:6], null, s1, v36, v[3:4]
	v_mov_b32_e32 v1, v4
	s_add_u32 s6, s18, s2
	s_addc_u32 s7, s19, s3
	s_lshl_b64 s[2:3], s[4:5], 4
	v_mov_b32_e32 v4, v9
	v_lshlrev_b64 v[0:1], 4, v[0:1]
	v_mov_b32_e32 v3, v5
	s_add_u32 s2, s6, s2
	s_addc_u32 s3, s7, s3
	v_mov_b32_e32 v13, v25
	v_add3_u32 v16, 0, v39, v38
	v_add_co_u32 v30, vcc_lo, s2, v0
	v_lshlrev_b64 v[2:3], 4, v[2:3]
	v_add_co_ci_u32_e32 v31, vcc_lo, s3, v1, vcc_lo
	v_mad_u64_u32 v[0:1], null, s1, v35, v[4:5]
	v_mov_b32_e32 v1, v11
	v_add_co_u32 v22, vcc_lo, v30, v2
	v_add_co_ci_u32_e32 v23, vcc_lo, v31, v3, vcc_lo
	v_mad_u64_u32 v[11:12], null, s1, v34, v[1:2]
	v_mov_b32_e32 v12, v21
	v_mov_b32_e32 v9, v0
	ds_read_b128 v[0:3], v16
	ds_read_b128 v[4:7], v16 offset:640
	v_mad_u64_u32 v[14:15], null, s1, v33, v[12:13]
	v_lshlrev_b64 v[8:9], 4, v[8:9]
	v_lshlrev_b64 v[28:29], 4, v[10:11]
	v_mad_u64_u32 v[25:26], null, s1, v32, v[13:14]
	v_add_co_u32 v26, vcc_lo, v30, v8
	v_add_co_ci_u32_e32 v27, vcc_lo, v31, v9, vcc_lo
	v_mov_b32_e32 v21, v14
	ds_read_b128 v[8:11], v16 offset:1280
	ds_read_b128 v[12:15], v16 offset:1920
	;; [unrolled: 1-line block ×3, first 2 shown]
	v_add_co_u32 v28, vcc_lo, v30, v28
	v_lshlrev_b64 v[24:25], 4, v[24:25]
	v_lshlrev_b64 v[20:21], 4, v[20:21]
	v_add_co_ci_u32_e32 v29, vcc_lo, v31, v29, vcc_lo
	v_add_co_u32 v20, vcc_lo, v30, v20
	v_add_co_ci_u32_e32 v21, vcc_lo, v31, v21, vcc_lo
	v_add_co_u32 v24, vcc_lo, v30, v24
	v_add_co_ci_u32_e32 v25, vcc_lo, v31, v25, vcc_lo
	s_waitcnt lgkmcnt(4)
	global_store_dwordx4 v[22:23], v[0:3], off
	s_waitcnt lgkmcnt(3)
	global_store_dwordx4 v[26:27], v[4:7], off
	;; [unrolled: 2-line block ×5, first 2 shown]
.LBB0_22:
	s_endpgm
	.section	.rodata,"a",@progbits
	.p2align	6, 0x0
	.amdhsa_kernel fft_rtc_back_len200_factors_5_8_5_wgs_400_tpt_40_dp_op_CI_CI_sbcc_twdbase6_3step
		.amdhsa_group_segment_fixed_size 0
		.amdhsa_private_segment_fixed_size 0
		.amdhsa_kernarg_size 112
		.amdhsa_user_sgpr_count 6
		.amdhsa_user_sgpr_private_segment_buffer 1
		.amdhsa_user_sgpr_dispatch_ptr 0
		.amdhsa_user_sgpr_queue_ptr 0
		.amdhsa_user_sgpr_kernarg_segment_ptr 1
		.amdhsa_user_sgpr_dispatch_id 0
		.amdhsa_user_sgpr_flat_scratch_init 0
		.amdhsa_user_sgpr_private_segment_size 0
		.amdhsa_wavefront_size32 1
		.amdhsa_uses_dynamic_stack 0
		.amdhsa_system_sgpr_private_segment_wavefront_offset 0
		.amdhsa_system_sgpr_workgroup_id_x 1
		.amdhsa_system_sgpr_workgroup_id_y 0
		.amdhsa_system_sgpr_workgroup_id_z 0
		.amdhsa_system_sgpr_workgroup_info 0
		.amdhsa_system_vgpr_workitem_id 0
		.amdhsa_next_free_vgpr 99
		.amdhsa_next_free_sgpr 57
		.amdhsa_reserve_vcc 1
		.amdhsa_reserve_flat_scratch 0
		.amdhsa_float_round_mode_32 0
		.amdhsa_float_round_mode_16_64 0
		.amdhsa_float_denorm_mode_32 3
		.amdhsa_float_denorm_mode_16_64 3
		.amdhsa_dx10_clamp 1
		.amdhsa_ieee_mode 1
		.amdhsa_fp16_overflow 0
		.amdhsa_workgroup_processor_mode 1
		.amdhsa_memory_ordered 1
		.amdhsa_forward_progress 0
		.amdhsa_shared_vgpr_count 0
		.amdhsa_exception_fp_ieee_invalid_op 0
		.amdhsa_exception_fp_denorm_src 0
		.amdhsa_exception_fp_ieee_div_zero 0
		.amdhsa_exception_fp_ieee_overflow 0
		.amdhsa_exception_fp_ieee_underflow 0
		.amdhsa_exception_fp_ieee_inexact 0
		.amdhsa_exception_int_div_zero 0
	.end_amdhsa_kernel
	.text
.Lfunc_end0:
	.size	fft_rtc_back_len200_factors_5_8_5_wgs_400_tpt_40_dp_op_CI_CI_sbcc_twdbase6_3step, .Lfunc_end0-fft_rtc_back_len200_factors_5_8_5_wgs_400_tpt_40_dp_op_CI_CI_sbcc_twdbase6_3step
                                        ; -- End function
	.section	.AMDGPU.csdata,"",@progbits
; Kernel info:
; codeLenInByte = 6356
; NumSgprs: 59
; NumVgprs: 99
; ScratchSize: 0
; MemoryBound: 0
; FloatMode: 240
; IeeeMode: 1
; LDSByteSize: 0 bytes/workgroup (compile time only)
; SGPRBlocks: 7
; VGPRBlocks: 12
; NumSGPRsForWavesPerEU: 59
; NumVGPRsForWavesPerEU: 99
; Occupancy: 9
; WaveLimiterHint : 1
; COMPUTE_PGM_RSRC2:SCRATCH_EN: 0
; COMPUTE_PGM_RSRC2:USER_SGPR: 6
; COMPUTE_PGM_RSRC2:TRAP_HANDLER: 0
; COMPUTE_PGM_RSRC2:TGID_X_EN: 1
; COMPUTE_PGM_RSRC2:TGID_Y_EN: 0
; COMPUTE_PGM_RSRC2:TGID_Z_EN: 0
; COMPUTE_PGM_RSRC2:TIDIG_COMP_CNT: 0
	.text
	.p2alignl 6, 3214868480
	.fill 48, 4, 3214868480
	.type	__hip_cuid_e88b251987527919,@object ; @__hip_cuid_e88b251987527919
	.section	.bss,"aw",@nobits
	.globl	__hip_cuid_e88b251987527919
__hip_cuid_e88b251987527919:
	.byte	0                               ; 0x0
	.size	__hip_cuid_e88b251987527919, 1

	.ident	"AMD clang version 19.0.0git (https://github.com/RadeonOpenCompute/llvm-project roc-6.4.0 25133 c7fe45cf4b819c5991fe208aaa96edf142730f1d)"
	.section	".note.GNU-stack","",@progbits
	.addrsig
	.addrsig_sym __hip_cuid_e88b251987527919
	.amdgpu_metadata
---
amdhsa.kernels:
  - .args:
      - .actual_access:  read_only
        .address_space:  global
        .offset:         0
        .size:           8
        .value_kind:     global_buffer
      - .address_space:  global
        .offset:         8
        .size:           8
        .value_kind:     global_buffer
      - .offset:         16
        .size:           8
        .value_kind:     by_value
      - .actual_access:  read_only
        .address_space:  global
        .offset:         24
        .size:           8
        .value_kind:     global_buffer
      - .actual_access:  read_only
        .address_space:  global
        .offset:         32
        .size:           8
        .value_kind:     global_buffer
      - .actual_access:  read_only
        .address_space:  global
        .offset:         40
        .size:           8
        .value_kind:     global_buffer
      - .offset:         48
        .size:           8
        .value_kind:     by_value
      - .actual_access:  read_only
        .address_space:  global
        .offset:         56
        .size:           8
        .value_kind:     global_buffer
      - .actual_access:  read_only
        .address_space:  global
        .offset:         64
        .size:           8
        .value_kind:     global_buffer
      - .offset:         72
        .size:           4
        .value_kind:     by_value
      - .actual_access:  read_only
        .address_space:  global
        .offset:         80
        .size:           8
        .value_kind:     global_buffer
      - .actual_access:  read_only
        .address_space:  global
        .offset:         88
        .size:           8
        .value_kind:     global_buffer
      - .actual_access:  read_only
        .address_space:  global
        .offset:         96
        .size:           8
        .value_kind:     global_buffer
      - .actual_access:  write_only
        .address_space:  global
        .offset:         104
        .size:           8
        .value_kind:     global_buffer
    .group_segment_fixed_size: 0
    .kernarg_segment_align: 8
    .kernarg_segment_size: 112
    .language:       OpenCL C
    .language_version:
      - 2
      - 0
    .max_flat_workgroup_size: 400
    .name:           fft_rtc_back_len200_factors_5_8_5_wgs_400_tpt_40_dp_op_CI_CI_sbcc_twdbase6_3step
    .private_segment_fixed_size: 0
    .sgpr_count:     59
    .sgpr_spill_count: 0
    .symbol:         fft_rtc_back_len200_factors_5_8_5_wgs_400_tpt_40_dp_op_CI_CI_sbcc_twdbase6_3step.kd
    .uniform_work_group_size: 1
    .uses_dynamic_stack: false
    .vgpr_count:     99
    .vgpr_spill_count: 0
    .wavefront_size: 32
    .workgroup_processor_mode: 1
amdhsa.target:   amdgcn-amd-amdhsa--gfx1030
amdhsa.version:
  - 1
  - 2
...

	.end_amdgpu_metadata
